;; amdgpu-corpus repo=ROCm/rocFFT kind=compiled arch=gfx1030 opt=O3
	.text
	.amdgcn_target "amdgcn-amd-amdhsa--gfx1030"
	.amdhsa_code_object_version 6
	.protected	fft_rtc_fwd_len182_factors_13_2_7_wgs_52_tpt_13_dp_op_CI_CI_unitstride_sbrr_dirReg ; -- Begin function fft_rtc_fwd_len182_factors_13_2_7_wgs_52_tpt_13_dp_op_CI_CI_unitstride_sbrr_dirReg
	.globl	fft_rtc_fwd_len182_factors_13_2_7_wgs_52_tpt_13_dp_op_CI_CI_unitstride_sbrr_dirReg
	.p2align	8
	.type	fft_rtc_fwd_len182_factors_13_2_7_wgs_52_tpt_13_dp_op_CI_CI_unitstride_sbrr_dirReg,@function
fft_rtc_fwd_len182_factors_13_2_7_wgs_52_tpt_13_dp_op_CI_CI_unitstride_sbrr_dirReg: ; @fft_rtc_fwd_len182_factors_13_2_7_wgs_52_tpt_13_dp_op_CI_CI_unitstride_sbrr_dirReg
; %bb.0:
	s_clause 0x2
	s_load_dwordx4 s[12:15], s[4:5], 0x0
	s_load_dwordx4 s[8:11], s[4:5], 0x58
	;; [unrolled: 1-line block ×3, first 2 shown]
	v_mul_u32_u24_e32 v1, 0x13b2, v0
	v_mov_b32_e32 v4, 0
	v_mov_b32_e32 v5, 0
	v_lshrrev_b32_e32 v107, 16, v1
	v_mov_b32_e32 v1, 0
	v_lshl_add_u32 v6, s6, 2, v107
	v_mov_b32_e32 v7, v1
	s_waitcnt lgkmcnt(0)
	v_cmp_lt_u64_e64 s0, s[14:15], 2
	s_and_b32 vcc_lo, exec_lo, s0
	s_cbranch_vccnz .LBB0_8
; %bb.1:
	s_load_dwordx2 s[0:1], s[4:5], 0x10
	v_mov_b32_e32 v4, 0
	v_mov_b32_e32 v5, 0
	s_add_u32 s2, s18, 8
	s_addc_u32 s3, s19, 0
	s_add_u32 s6, s16, 8
	s_addc_u32 s7, s17, 0
	v_mov_b32_e32 v105, v5
	v_mov_b32_e32 v104, v4
	s_mov_b64 s[22:23], 1
	s_waitcnt lgkmcnt(0)
	s_add_u32 s20, s0, 8
	s_addc_u32 s21, s1, 0
.LBB0_2:                                ; =>This Inner Loop Header: Depth=1
	s_load_dwordx2 s[24:25], s[20:21], 0x0
                                        ; implicit-def: $vgpr108_vgpr109
	s_mov_b32 s0, exec_lo
	s_waitcnt lgkmcnt(0)
	v_or_b32_e32 v2, s25, v7
	v_cmpx_ne_u64_e32 0, v[1:2]
	s_xor_b32 s1, exec_lo, s0
	s_cbranch_execz .LBB0_4
; %bb.3:                                ;   in Loop: Header=BB0_2 Depth=1
	v_cvt_f32_u32_e32 v2, s24
	v_cvt_f32_u32_e32 v3, s25
	s_sub_u32 s0, 0, s24
	s_subb_u32 s26, 0, s25
	v_fmac_f32_e32 v2, 0x4f800000, v3
	v_rcp_f32_e32 v2, v2
	v_mul_f32_e32 v2, 0x5f7ffffc, v2
	v_mul_f32_e32 v3, 0x2f800000, v2
	v_trunc_f32_e32 v3, v3
	v_fmac_f32_e32 v2, 0xcf800000, v3
	v_cvt_u32_f32_e32 v3, v3
	v_cvt_u32_f32_e32 v2, v2
	v_mul_lo_u32 v8, s0, v3
	v_mul_hi_u32 v9, s0, v2
	v_mul_lo_u32 v10, s26, v2
	v_add_nc_u32_e32 v8, v9, v8
	v_mul_lo_u32 v9, s0, v2
	v_add_nc_u32_e32 v8, v8, v10
	v_mul_hi_u32 v10, v2, v9
	v_mul_lo_u32 v11, v2, v8
	v_mul_hi_u32 v12, v2, v8
	v_mul_hi_u32 v13, v3, v9
	v_mul_lo_u32 v9, v3, v9
	v_mul_hi_u32 v14, v3, v8
	v_mul_lo_u32 v8, v3, v8
	v_add_co_u32 v10, vcc_lo, v10, v11
	v_add_co_ci_u32_e32 v11, vcc_lo, 0, v12, vcc_lo
	v_add_co_u32 v9, vcc_lo, v10, v9
	v_add_co_ci_u32_e32 v9, vcc_lo, v11, v13, vcc_lo
	v_add_co_ci_u32_e32 v10, vcc_lo, 0, v14, vcc_lo
	v_add_co_u32 v8, vcc_lo, v9, v8
	v_add_co_ci_u32_e32 v9, vcc_lo, 0, v10, vcc_lo
	v_add_co_u32 v2, vcc_lo, v2, v8
	v_add_co_ci_u32_e32 v3, vcc_lo, v3, v9, vcc_lo
	v_mul_hi_u32 v8, s0, v2
	v_mul_lo_u32 v10, s26, v2
	v_mul_lo_u32 v9, s0, v3
	v_add_nc_u32_e32 v8, v8, v9
	v_mul_lo_u32 v9, s0, v2
	v_add_nc_u32_e32 v8, v8, v10
	v_mul_hi_u32 v10, v2, v9
	v_mul_lo_u32 v11, v2, v8
	v_mul_hi_u32 v12, v2, v8
	v_mul_hi_u32 v13, v3, v9
	v_mul_lo_u32 v9, v3, v9
	v_mul_hi_u32 v14, v3, v8
	v_mul_lo_u32 v8, v3, v8
	v_add_co_u32 v10, vcc_lo, v10, v11
	v_add_co_ci_u32_e32 v11, vcc_lo, 0, v12, vcc_lo
	v_add_co_u32 v9, vcc_lo, v10, v9
	v_add_co_ci_u32_e32 v9, vcc_lo, v11, v13, vcc_lo
	v_add_co_ci_u32_e32 v10, vcc_lo, 0, v14, vcc_lo
	v_add_co_u32 v8, vcc_lo, v9, v8
	v_add_co_ci_u32_e32 v9, vcc_lo, 0, v10, vcc_lo
	v_add_co_u32 v8, vcc_lo, v2, v8
	v_add_co_ci_u32_e32 v10, vcc_lo, v3, v9, vcc_lo
	v_mul_hi_u32 v12, v6, v8
	v_mad_u64_u32 v[8:9], null, v7, v8, 0
	v_mad_u64_u32 v[2:3], null, v6, v10, 0
	v_mad_u64_u32 v[10:11], null, v7, v10, 0
	v_add_co_u32 v2, vcc_lo, v12, v2
	v_add_co_ci_u32_e32 v3, vcc_lo, 0, v3, vcc_lo
	v_add_co_u32 v2, vcc_lo, v2, v8
	v_add_co_ci_u32_e32 v2, vcc_lo, v3, v9, vcc_lo
	v_add_co_ci_u32_e32 v3, vcc_lo, 0, v11, vcc_lo
	v_add_co_u32 v8, vcc_lo, v2, v10
	v_add_co_ci_u32_e32 v9, vcc_lo, 0, v3, vcc_lo
	v_mul_lo_u32 v10, s25, v8
	v_mad_u64_u32 v[2:3], null, s24, v8, 0
	v_mul_lo_u32 v11, s24, v9
	v_sub_co_u32 v2, vcc_lo, v6, v2
	v_add3_u32 v3, v3, v11, v10
	v_sub_nc_u32_e32 v10, v7, v3
	v_subrev_co_ci_u32_e64 v10, s0, s25, v10, vcc_lo
	v_add_co_u32 v11, s0, v8, 2
	v_add_co_ci_u32_e64 v12, s0, 0, v9, s0
	v_sub_co_u32 v13, s0, v2, s24
	v_sub_co_ci_u32_e32 v3, vcc_lo, v7, v3, vcc_lo
	v_subrev_co_ci_u32_e64 v10, s0, 0, v10, s0
	v_cmp_le_u32_e32 vcc_lo, s24, v13
	v_cmp_eq_u32_e64 s0, s25, v3
	v_cndmask_b32_e64 v13, 0, -1, vcc_lo
	v_cmp_le_u32_e32 vcc_lo, s25, v10
	v_cndmask_b32_e64 v14, 0, -1, vcc_lo
	v_cmp_le_u32_e32 vcc_lo, s24, v2
	;; [unrolled: 2-line block ×3, first 2 shown]
	v_cndmask_b32_e64 v15, 0, -1, vcc_lo
	v_cmp_eq_u32_e32 vcc_lo, s25, v10
	v_cndmask_b32_e64 v2, v15, v2, s0
	v_cndmask_b32_e32 v10, v14, v13, vcc_lo
	v_add_co_u32 v13, vcc_lo, v8, 1
	v_add_co_ci_u32_e32 v14, vcc_lo, 0, v9, vcc_lo
	v_cmp_ne_u32_e32 vcc_lo, 0, v10
	v_cndmask_b32_e32 v3, v14, v12, vcc_lo
	v_cndmask_b32_e32 v10, v13, v11, vcc_lo
	v_cmp_ne_u32_e32 vcc_lo, 0, v2
	v_cndmask_b32_e32 v109, v9, v3, vcc_lo
	v_cndmask_b32_e32 v108, v8, v10, vcc_lo
.LBB0_4:                                ;   in Loop: Header=BB0_2 Depth=1
	s_andn2_saveexec_b32 s0, s1
	s_cbranch_execz .LBB0_6
; %bb.5:                                ;   in Loop: Header=BB0_2 Depth=1
	v_cvt_f32_u32_e32 v2, s24
	s_sub_i32 s1, 0, s24
	v_mov_b32_e32 v109, v1
	v_rcp_iflag_f32_e32 v2, v2
	v_mul_f32_e32 v2, 0x4f7ffffe, v2
	v_cvt_u32_f32_e32 v2, v2
	v_mul_lo_u32 v3, s1, v2
	v_mul_hi_u32 v3, v2, v3
	v_add_nc_u32_e32 v2, v2, v3
	v_mul_hi_u32 v2, v6, v2
	v_mul_lo_u32 v3, v2, s24
	v_add_nc_u32_e32 v8, 1, v2
	v_sub_nc_u32_e32 v3, v6, v3
	v_subrev_nc_u32_e32 v9, s24, v3
	v_cmp_le_u32_e32 vcc_lo, s24, v3
	v_cndmask_b32_e32 v3, v3, v9, vcc_lo
	v_cndmask_b32_e32 v2, v2, v8, vcc_lo
	v_cmp_le_u32_e32 vcc_lo, s24, v3
	v_add_nc_u32_e32 v8, 1, v2
	v_cndmask_b32_e32 v108, v2, v8, vcc_lo
.LBB0_6:                                ;   in Loop: Header=BB0_2 Depth=1
	s_or_b32 exec_lo, exec_lo, s0
	v_mul_lo_u32 v8, v109, s24
	v_mul_lo_u32 v9, v108, s25
	s_load_dwordx2 s[0:1], s[6:7], 0x0
	v_mad_u64_u32 v[2:3], null, v108, s24, 0
	s_load_dwordx2 s[24:25], s[2:3], 0x0
	s_add_u32 s22, s22, 1
	s_addc_u32 s23, s23, 0
	s_add_u32 s2, s2, 8
	s_addc_u32 s3, s3, 0
	s_add_u32 s6, s6, 8
	v_add3_u32 v3, v3, v9, v8
	v_sub_co_u32 v2, vcc_lo, v6, v2
	s_addc_u32 s7, s7, 0
	s_add_u32 s20, s20, 8
	v_sub_co_ci_u32_e32 v3, vcc_lo, v7, v3, vcc_lo
	s_addc_u32 s21, s21, 0
	s_waitcnt lgkmcnt(0)
	v_mul_lo_u32 v6, s0, v3
	v_mul_lo_u32 v7, s1, v2
	v_mad_u64_u32 v[4:5], null, s0, v2, v[4:5]
	v_mul_lo_u32 v3, s24, v3
	v_mul_lo_u32 v8, s25, v2
	v_mad_u64_u32 v[104:105], null, s24, v2, v[104:105]
	v_cmp_ge_u64_e64 s0, s[22:23], s[14:15]
	v_add3_u32 v5, v7, v5, v6
	v_add3_u32 v105, v8, v105, v3
	s_and_b32 vcc_lo, exec_lo, s0
	s_cbranch_vccnz .LBB0_9
; %bb.7:                                ;   in Loop: Header=BB0_2 Depth=1
	v_mov_b32_e32 v6, v108
	v_mov_b32_e32 v7, v109
	s_branch .LBB0_2
.LBB0_8:
	v_mov_b32_e32 v105, v5
	v_mov_b32_e32 v109, v7
	;; [unrolled: 1-line block ×4, first 2 shown]
.LBB0_9:
	s_load_dwordx2 s[0:1], s[4:5], 0x28
	v_mul_hi_u32 v1, 0x13b13b14, v0
	s_lshl_b64 s[4:5], s[14:15], 3
                                        ; implicit-def: $vgpr106
	s_add_u32 s2, s18, s4
	s_addc_u32 s3, s19, s5
	s_waitcnt lgkmcnt(0)
	v_cmp_gt_u64_e32 vcc_lo, s[0:1], v[108:109]
	v_cmp_le_u64_e64 s0, s[0:1], v[108:109]
	s_and_saveexec_b32 s1, s0
	s_xor_b32 s0, exec_lo, s1
; %bb.10:
	v_mul_u32_u24_e32 v1, 13, v1
                                        ; implicit-def: $vgpr4_vgpr5
	v_sub_nc_u32_e32 v106, v0, v1
                                        ; implicit-def: $vgpr1
                                        ; implicit-def: $vgpr0
; %bb.11:
	s_or_saveexec_b32 s1, s0
	s_load_dwordx2 s[2:3], s[2:3], 0x0
                                        ; implicit-def: $vgpr6_vgpr7
                                        ; implicit-def: $vgpr10_vgpr11
                                        ; implicit-def: $vgpr14_vgpr15
                                        ; implicit-def: $vgpr18_vgpr19
                                        ; implicit-def: $vgpr22_vgpr23
                                        ; implicit-def: $vgpr26_vgpr27
                                        ; implicit-def: $vgpr34_vgpr35
                                        ; implicit-def: $vgpr38_vgpr39
                                        ; implicit-def: $vgpr42_vgpr43
                                        ; implicit-def: $vgpr30_vgpr31
                                        ; implicit-def: $vgpr46_vgpr47
                                        ; implicit-def: $vgpr50_vgpr51
                                        ; implicit-def: $vgpr2_vgpr3
                                        ; implicit-def: $vgpr70_vgpr71
                                        ; implicit-def: $vgpr74_vgpr75
                                        ; implicit-def: $vgpr82_vgpr83
                                        ; implicit-def: $vgpr86_vgpr87
                                        ; implicit-def: $vgpr66_vgpr67
                                        ; implicit-def: $vgpr58_vgpr59
                                        ; implicit-def: $vgpr54_vgpr55
                                        ; implicit-def: $vgpr62_vgpr63
                                        ; implicit-def: $vgpr90_vgpr91
                                        ; implicit-def: $vgpr94_vgpr95
                                        ; implicit-def: $vgpr98_vgpr99
                                        ; implicit-def: $vgpr102_vgpr103
                                        ; implicit-def: $vgpr78_vgpr79
	s_xor_b32 exec_lo, exec_lo, s1
	s_cbranch_execz .LBB0_15
; %bb.12:
	s_add_u32 s4, s16, s4
	s_addc_u32 s5, s17, s5
                                        ; implicit-def: $vgpr48_vgpr49
                                        ; implicit-def: $vgpr44_vgpr45
                                        ; implicit-def: $vgpr28_vgpr29
                                        ; implicit-def: $vgpr40_vgpr41
                                        ; implicit-def: $vgpr36_vgpr37
                                        ; implicit-def: $vgpr32_vgpr33
                                        ; implicit-def: $vgpr24_vgpr25
                                        ; implicit-def: $vgpr20_vgpr21
                                        ; implicit-def: $vgpr16_vgpr17
                                        ; implicit-def: $vgpr12_vgpr13
                                        ; implicit-def: $vgpr8_vgpr9
	s_load_dwordx2 s[4:5], s[4:5], 0x0
	s_waitcnt lgkmcnt(0)
	v_mul_lo_u32 v6, s5, v108
	v_mul_lo_u32 v7, s4, v109
	v_mad_u64_u32 v[2:3], null, s4, v108, 0
	s_mov_b32 s4, exec_lo
	v_add3_u32 v3, v3, v7, v6
	v_mul_u32_u24_e32 v6, 13, v1
	v_lshlrev_b64 v[1:2], 4, v[2:3]
	v_lshlrev_b64 v[3:4], 4, v[4:5]
	v_sub_nc_u32_e32 v106, v0, v6
	v_add_co_u32 v0, s0, s8, v1
	v_add_co_ci_u32_e64 v1, s0, s9, v2, s0
	v_lshlrev_b32_e32 v2, 4, v106
	v_add_co_u32 v6, s0, v0, v3
	v_add_co_ci_u32_e64 v7, s0, v1, v4, s0
                                        ; implicit-def: $vgpr4_vgpr5
	v_add_co_u32 v0, s0, v6, v2
	v_add_co_ci_u32_e64 v1, s0, 0, v7, s0
	s_clause 0x5
	global_load_dwordx4 v[76:79], v[0:1], off
	global_load_dwordx4 v[100:103], v[0:1], off offset:224
	global_load_dwordx4 v[96:99], v[0:1], off offset:448
	;; [unrolled: 1-line block ×5, first 2 shown]
	v_add_co_u32 v2, s0, 0x800, v0
	v_add_co_ci_u32_e64 v3, s0, 0, v1, s0
	s_clause 0x6
	global_load_dwordx4 v[52:55], v[0:1], off offset:1344
	global_load_dwordx4 v[56:59], v[0:1], off offset:1568
	;; [unrolled: 1-line block ×7, first 2 shown]
                                        ; implicit-def: $vgpr0_vgpr1
	v_cmpx_eq_u32_e32 0, v106
; %bb.13:
	v_add_co_u32 v4, s0, 0x800, v6
	v_add_co_ci_u32_e64 v5, s0, 0, v7, s0
	s_clause 0xc
	global_load_dwordx4 v[0:3], v[6:7], off offset:208
	global_load_dwordx4 v[48:51], v[6:7], off offset:432
	global_load_dwordx4 v[44:47], v[6:7], off offset:656
	global_load_dwordx4 v[28:31], v[6:7], off offset:880
	global_load_dwordx4 v[40:43], v[6:7], off offset:1104
	global_load_dwordx4 v[36:39], v[6:7], off offset:1328
	global_load_dwordx4 v[32:35], v[6:7], off offset:1552
	global_load_dwordx4 v[24:27], v[6:7], off offset:1776
	global_load_dwordx4 v[20:23], v[6:7], off offset:2000
	global_load_dwordx4 v[16:19], v[4:5], off offset:176
	global_load_dwordx4 v[12:15], v[4:5], off offset:400
	global_load_dwordx4 v[8:11], v[4:5], off offset:624
	global_load_dwordx4 v[4:7], v[4:5], off offset:848
	v_mov_b32_e32 v106, 0
; %bb.14:
	s_or_b32 exec_lo, exec_lo, s4
.LBB0_15:
	s_or_b32 exec_lo, exec_lo, s1
	s_waitcnt vmcnt(11)
	v_add_f64 v[112:113], v[102:103], v[78:79]
	v_add_f64 v[110:111], v[100:101], v[76:77]
	s_waitcnt vmcnt(0)
	v_add_f64 v[116:117], v[68:69], v[100:101]
	v_add_f64 v[118:119], v[100:101], -v[68:69]
	v_add_f64 v[100:101], v[102:103], -v[70:71]
	s_mov_b32 s4, 0xe00740e9
	s_mov_b32 s6, 0x4267c47c
	;; [unrolled: 1-line block ×17, first 2 shown]
	v_add_f64 v[112:113], v[98:99], v[112:113]
	v_add_f64 v[114:115], v[96:97], v[110:111]
	;; [unrolled: 1-line block ×3, first 2 shown]
	s_mov_b32 s31, 0xbfedeba7
	s_mov_b32 s18, 0xd0032e0c
	;; [unrolled: 1-line block ×19, first 2 shown]
	v_add_f64 v[112:113], v[94:95], v[112:113]
	v_add_f64 v[102:103], v[92:93], v[114:115]
	;; [unrolled: 1-line block ×3, first 2 shown]
	v_add_f64 v[122:123], v[96:97], -v[72:73]
	v_add_f64 v[124:125], v[80:81], v[92:93]
	v_add_f64 v[126:127], v[82:83], v[94:95]
	v_add_f64 v[128:129], v[92:93], -v[80:81]
	v_add_f64 v[130:131], v[94:95], -v[82:83]
	v_add_f64 v[94:95], v[84:85], v[88:89]
	v_add_f64 v[92:93], v[86:87], v[90:91]
	v_add_f64 v[96:97], v[88:89], -v[84:85]
	v_mul_f64 v[132:133], v[118:119], s[24:25]
	v_mul_f64 v[134:135], v[116:117], s[14:15]
	;; [unrolled: 1-line block ×10, first 2 shown]
	v_add_f64 v[120:121], v[74:75], v[98:99]
	v_add_f64 v[112:113], v[90:91], v[112:113]
	;; [unrolled: 1-line block ×3, first 2 shown]
	v_add_f64 v[88:89], v[90:91], -v[86:87]
	v_mul_f64 v[90:91], v[116:117], s[4:5]
	v_mul_f64 v[116:117], v[116:117], s[20:21]
	v_add_f64 v[98:99], v[98:99], -v[74:75]
	v_mul_f64 v[150:151], v[114:115], s[14:15]
	v_mul_f64 v[152:153], v[114:115], s[16:17]
	;; [unrolled: 1-line block ×9, first 2 shown]
	v_fma_f64 v[200:201], v[110:111], s[4:5], v[132:133]
	v_fma_f64 v[132:133], v[110:111], s[4:5], -v[132:133]
	v_fma_f64 v[202:203], v[100:101], s[40:41], v[134:135]
	v_fma_f64 v[134:135], v[100:101], s[26:27], v[134:135]
	;; [unrolled: 1-line block ×5, first 2 shown]
	v_add_f64 v[112:113], v[62:63], v[112:113]
	v_add_f64 v[102:103], v[60:61], v[102:103]
	v_fma_f64 v[140:141], v[110:111], s[8:9], -v[140:141]
	v_fma_f64 v[198:199], v[100:101], s[6:7], v[90:91]
	v_fma_f64 v[90:91], v[100:101], s[24:25], v[90:91]
	;; [unrolled: 1-line block ×5, first 2 shown]
	v_mul_f64 v[162:163], v[122:123], s[30:31]
	v_mul_f64 v[168:169], v[122:123], s[22:23]
	;; [unrolled: 1-line block ×3, first 2 shown]
	v_fma_f64 v[204:205], v[110:111], s[14:15], v[136:137]
	v_fma_f64 v[136:137], v[110:111], s[14:15], -v[136:137]
	v_fma_f64 v[214:215], v[100:101], s[38:39], v[146:147]
	v_fma_f64 v[146:147], v[100:101], s[34:35], v[146:147]
	;; [unrolled: 1-line block ×5, first 2 shown]
	v_mul_f64 v[170:171], v[124:125], s[8:9]
	v_mul_f64 v[172:173], v[128:129], s[28:29]
	;; [unrolled: 1-line block ×4, first 2 shown]
	v_add_f64 v[112:113], v[54:55], v[112:113]
	v_add_f64 v[102:103], v[52:53], v[102:103]
	v_mul_f64 v[178:179], v[124:125], s[16:17]
	v_mul_f64 v[180:181], v[128:129], s[42:43]
	;; [unrolled: 1-line block ×4, first 2 shown]
	v_fma_f64 v[144:145], v[110:111], s[16:17], -v[144:145]
	v_fma_f64 v[216:217], v[110:111], s[18:19], v[148:149]
	v_fma_f64 v[148:149], v[110:111], s[18:19], -v[148:149]
	v_fma_f64 v[110:111], v[110:111], s[20:21], -v[118:119]
	v_fma_f64 v[118:119], v[98:99], s[40:41], v[150:151]
	v_fma_f64 v[150:151], v[98:99], s[26:27], v[150:151]
	;; [unrolled: 1-line block ×12, first 2 shown]
	v_add_f64 v[112:113], v[58:59], v[112:113]
	v_add_f64 v[102:103], v[56:57], v[102:103]
	v_fma_f64 v[114:115], v[120:121], s[14:15], v[160:161]
	v_fma_f64 v[160:161], v[120:121], s[14:15], -v[160:161]
	v_fma_f64 v[232:233], v[120:121], s[20:21], v[164:165]
	v_fma_f64 v[164:165], v[120:121], s[20:21], -v[164:165]
	v_fma_f64 v[234:235], v[120:121], s[18:19], v[166:167]
	v_add_f64 v[198:199], v[76:77], v[198:199]
	v_add_f64 v[200:201], v[78:79], v[200:201]
	;; [unrolled: 1-line block ×9, first 2 shown]
	v_mul_f64 v[186:187], v[124:125], s[14:15]
	v_mul_f64 v[188:189], v[128:129], s[26:27]
	;; [unrolled: 1-line block ×3, first 2 shown]
	v_fma_f64 v[230:231], v[120:121], s[16:17], v[162:163]
	v_fma_f64 v[162:163], v[120:121], s[16:17], -v[162:163]
	v_add_f64 v[202:203], v[76:77], v[202:203]
	v_add_f64 v[112:113], v[66:67], v[112:113]
	;; [unrolled: 1-line block ×10, first 2 shown]
	v_mul_f64 v[124:125], v[124:125], s[18:19]
	v_mul_f64 v[190:191], v[94:95], s[16:17]
	v_fma_f64 v[166:167], v[120:121], s[18:19], -v[166:167]
	v_add_f64 v[144:145], v[78:79], v[144:145]
	v_add_f64 v[216:217], v[78:79], v[216:217]
	;; [unrolled: 1-line block ×7, first 2 shown]
	v_fma_f64 v[100:101], v[126:127], s[8:9], v[172:173]
	v_fma_f64 v[110:111], v[130:131], s[28:29], v[170:171]
	v_add_f64 v[118:119], v[118:119], v[198:199]
	v_add_f64 v[86:87], v[86:87], v[112:113]
	;; [unrolled: 1-line block ×3, first 2 shown]
	v_fma_f64 v[102:103], v[120:121], s[8:9], v[168:169]
	v_fma_f64 v[112:113], v[120:121], s[8:9], -v[168:169]
	v_fma_f64 v[168:169], v[120:121], s[4:5], v[122:123]
	v_fma_f64 v[120:121], v[120:121], s[4:5], -v[122:123]
	v_fma_f64 v[122:123], v[130:131], s[22:23], v[170:171]
	v_fma_f64 v[170:171], v[126:127], s[8:9], -v[172:173]
	v_fma_f64 v[172:173], v[130:131], s[44:45], v[174:175]
	v_fma_f64 v[198:199], v[126:127], s[16:17], v[180:181]
	v_fma_f64 v[180:181], v[126:127], s[16:17], -v[180:181]
	v_add_f64 v[114:115], v[114:115], v[200:201]
	v_fma_f64 v[200:201], v[130:131], s[24:25], v[182:183]
	v_add_f64 v[90:91], v[150:151], v[90:91]
	v_fma_f64 v[150:151], v[126:127], s[4:5], v[184:185]
	v_fma_f64 v[182:183], v[130:131], s[6:7], v[182:183]
	v_add_f64 v[132:133], v[160:161], v[132:133]
	v_add_f64 v[134:135], v[152:153], v[134:135]
	;; [unrolled: 1-line block ×8, first 2 shown]
	v_fma_f64 v[84:85], v[126:127], s[20:21], v[176:177]
	v_fma_f64 v[86:87], v[130:131], s[36:37], v[174:175]
	v_fma_f64 v[174:175], v[126:127], s[20:21], -v[176:177]
	v_fma_f64 v[176:177], v[130:131], s[30:31], v[178:179]
	v_fma_f64 v[178:179], v[130:131], s[42:43], v[178:179]
	v_mul_f64 v[192:193], v[96:97], s[30:31]
	v_mul_f64 v[194:195], v[94:95], s[18:19]
	;; [unrolled: 1-line block ×3, first 2 shown]
	v_fma_f64 v[160:161], v[130:131], s[40:41], v[186:187]
	v_add_f64 v[202:203], v[220:221], v[202:203]
	v_add_f64 v[204:205], v[230:231], v[204:205]
	;; [unrolled: 1-line block ×7, first 2 shown]
	v_fma_f64 v[184:185], v[126:127], s[4:5], -v[184:185]
	v_fma_f64 v[220:221], v[126:127], s[14:15], v[188:189]
	v_fma_f64 v[188:189], v[126:127], s[14:15], -v[188:189]
	v_add_f64 v[76:77], v[98:99], v[76:77]
	v_add_f64 v[74:75], v[74:75], v[82:83]
	;; [unrolled: 1-line block ×12, first 2 shown]
	v_fma_f64 v[142:143], v[88:89], s[30:31], v[190:191]
	v_mul_f64 v[150:151], v[94:95], s[4:5]
	v_fma_f64 v[186:187], v[130:131], s[26:27], v[186:187]
	v_add_f64 v[80:81], v[166:167], v[144:145]
	v_add_f64 v[144:145], v[158:159], v[146:147]
	;; [unrolled: 1-line block ×9, first 2 shown]
	v_fma_f64 v[74:75], v[126:127], s[18:19], v[128:129]
	v_add_f64 v[68:69], v[68:69], v[72:73]
	v_fma_f64 v[72:73], v[130:131], s[38:39], v[124:125]
	v_fma_f64 v[124:125], v[130:131], s[34:35], v[124:125]
	v_fma_f64 v[126:127], v[126:127], s[18:19], -v[128:129]
	v_fma_f64 v[128:129], v[88:89], s[42:43], v[190:191]
	v_add_f64 v[118:119], v[174:175], v[136:137]
	v_add_f64 v[120:121], v[176:177], v[152:153]
	;; [unrolled: 1-line block ×4, first 2 shown]
	v_fma_f64 v[130:131], v[92:93], s[16:17], v[192:193]
	v_add_f64 v[82:83], v[160:161], v[82:83]
	v_fma_f64 v[148:149], v[92:93], s[16:17], -v[192:193]
	v_fma_f64 v[152:153], v[88:89], s[34:35], v[194:195]
	v_fma_f64 v[154:155], v[92:93], s[18:19], v[196:197]
	v_mul_f64 v[156:157], v[96:97], s[6:7]
	v_add_f64 v[160:161], v[64:65], v[60:61]
	v_mul_f64 v[162:163], v[96:97], s[28:29]
	v_add_f64 v[60:61], v[60:61], -v[64:65]
	v_fma_f64 v[158:159], v[88:89], s[38:39], v[194:195]
	v_add_f64 v[90:91], v[142:143], v[90:91]
	v_fma_f64 v[142:143], v[88:89], s[6:7], v[150:151]
	v_add_f64 v[74:75], v[74:75], v[116:117]
	v_mul_f64 v[116:117], v[94:95], s[8:9]
	v_add_f64 v[72:73], v[72:73], v[146:147]
	v_add_f64 v[76:77], v[124:125], v[76:77]
	v_mul_f64 v[124:125], v[94:95], s[20:21]
	v_add_f64 v[64:65], v[128:129], v[98:99]
	v_fma_f64 v[128:129], v[88:89], s[24:25], v[150:151]
	v_mul_f64 v[94:95], v[94:95], s[14:15]
	v_fma_f64 v[146:147], v[92:93], s[18:19], -v[196:197]
	v_add_f64 v[78:79], v[126:127], v[78:79]
	v_add_f64 v[98:99], v[130:131], v[100:101]
	v_mul_f64 v[126:127], v[96:97], s[44:45]
	v_add_f64 v[110:111], v[148:149], v[110:111]
	v_add_f64 v[114:115], v[152:153], v[114:115]
	;; [unrolled: 1-line block ×3, first 2 shown]
	v_fma_f64 v[130:131], v[92:93], s[4:5], v[156:157]
	v_fma_f64 v[148:149], v[92:93], s[4:5], -v[156:157]
	v_mul_f64 v[96:97], v[96:97], s[40:41]
	v_add_f64 v[152:153], v[62:63], -v[66:67]
	v_mul_f64 v[154:155], v[160:161], s[18:19]
	v_fma_f64 v[156:157], v[92:93], s[8:9], v[162:163]
	v_add_f64 v[62:63], v[66:67], v[62:63]
	v_mul_f64 v[66:67], v[60:61], s[34:35]
	v_fma_f64 v[150:151], v[88:89], s[22:23], v[116:117]
	v_add_f64 v[86:87], v[158:159], v[86:87]
	v_fma_f64 v[116:117], v[88:89], s[28:29], v[116:117]
	v_fma_f64 v[158:159], v[92:93], s[8:9], -v[162:163]
	v_fma_f64 v[162:163], v[88:89], s[36:37], v[124:125]
	v_add_f64 v[120:121], v[128:129], v[120:121]
	v_fma_f64 v[124:125], v[88:89], s[44:45], v[124:125]
	v_add_f64 v[128:129], v[142:143], v[132:133]
	v_fma_f64 v[132:133], v[88:89], s[26:27], v[94:95]
	v_fma_f64 v[88:89], v[88:89], s[40:41], v[94:95]
	v_add_f64 v[144:145], v[186:187], v[144:145]
	v_add_f64 v[112:113], v[188:189], v[112:113]
	v_fma_f64 v[164:165], v[92:93], s[20:21], v[126:127]
	v_add_f64 v[118:119], v[146:147], v[118:119]
	v_fma_f64 v[126:127], v[92:93], s[20:21], -v[126:127]
	v_add_f64 v[122:123], v[130:131], v[122:123]
	v_add_f64 v[130:131], v[148:149], v[134:135]
	v_fma_f64 v[134:135], v[92:93], s[14:15], v[96:97]
	v_fma_f64 v[92:93], v[92:93], s[14:15], -v[96:97]
	v_fma_f64 v[96:97], v[152:153], s[38:39], v[154:155]
	v_add_f64 v[102:103], v[102:103], v[216:217]
	v_fma_f64 v[146:147], v[62:63], s[18:19], v[66:67]
	v_add_f64 v[94:95], v[150:151], v[136:137]
	v_add_f64 v[136:137], v[156:157], v[138:139]
	v_mul_f64 v[138:139], v[160:161], s[8:9]
	v_mul_f64 v[142:143], v[60:61], s[22:23]
	v_add_f64 v[80:81], v[184:185], v[80:81]
	v_add_f64 v[116:117], v[116:117], v[140:141]
	v_fma_f64 v[140:141], v[152:153], s[34:35], v[154:155]
	v_mul_f64 v[148:149], v[160:161], s[14:15]
	v_mul_f64 v[150:151], v[60:61], s[26:27]
	v_add_f64 v[76:77], v[88:89], v[76:77]
	v_add_f64 v[88:89], v[56:57], v[52:53]
	;; [unrolled: 1-line block ×3, first 2 shown]
	v_fma_f64 v[66:67], v[62:63], s[18:19], -v[66:67]
	v_mul_f64 v[144:145], v[60:61], s[44:45]
	v_add_f64 v[112:113], v[126:127], v[112:113]
	v_mul_f64 v[126:127], v[160:161], s[20:21]
	v_add_f64 v[52:53], v[52:53], -v[56:57]
	v_add_f64 v[72:73], v[132:133], v[72:73]
	v_add_f64 v[74:75], v[134:135], v[74:75]
	;; [unrolled: 1-line block ×5, first 2 shown]
	v_mul_f64 v[98:99], v[160:161], s[4:5]
	v_add_f64 v[78:79], v[92:93], v[78:79]
	v_fma_f64 v[56:57], v[152:153], s[28:29], v[138:139]
	v_fma_f64 v[92:93], v[62:63], s[8:9], v[142:143]
	;; [unrolled: 1-line block ×3, first 2 shown]
	v_fma_f64 v[134:135], v[62:63], s[8:9], -v[142:143]
	v_mul_f64 v[138:139], v[60:61], s[6:7]
	v_add_f64 v[80:81], v[158:159], v[80:81]
	v_add_f64 v[90:91], v[140:141], v[90:91]
	v_fma_f64 v[140:141], v[152:153], s[40:41], v[148:149]
	v_mul_f64 v[60:61], v[60:61], s[30:31]
	v_add_f64 v[156:157], v[54:55], -v[58:59]
	v_mul_f64 v[158:159], v[88:89], s[20:21]
	v_add_f64 v[82:83], v[162:163], v[82:83]
	v_fma_f64 v[142:143], v[62:63], s[14:15], v[150:151]
	v_fma_f64 v[146:147], v[152:153], s[26:27], v[148:149]
	v_fma_f64 v[148:149], v[62:63], s[14:15], -v[150:151]
	v_add_f64 v[150:151], v[66:67], v[110:111]
	v_fma_f64 v[66:67], v[152:153], s[36:37], v[126:127]
	v_fma_f64 v[110:111], v[62:63], s[20:21], v[144:145]
	v_mul_f64 v[154:155], v[160:161], s[16:17]
	v_add_f64 v[58:59], v[58:59], v[54:55]
	v_fma_f64 v[54:55], v[62:63], s[20:21], -v[144:145]
	v_add_f64 v[102:103], v[164:165], v[102:103]
	v_add_f64 v[114:115], v[56:57], v[114:115]
	v_fma_f64 v[56:57], v[152:153], s[24:25], v[98:99]
	v_fma_f64 v[126:127], v[152:153], s[44:45], v[126:127]
	v_mul_f64 v[160:161], v[52:53], s[36:37]
	v_add_f64 v[84:85], v[92:93], v[84:85]
	v_add_f64 v[92:93], v[134:135], v[118:119]
	v_fma_f64 v[118:119], v[62:63], s[4:5], v[138:139]
	v_fma_f64 v[98:99], v[152:153], s[6:7], v[98:99]
	v_add_f64 v[86:87], v[132:133], v[86:87]
	v_fma_f64 v[132:133], v[62:63], s[4:5], -v[138:139]
	v_add_f64 v[120:121], v[140:141], v[120:121]
	v_fma_f64 v[134:135], v[62:63], s[16:17], v[60:61]
	v_fma_f64 v[60:61], v[62:63], s[16:17], -v[60:61]
	v_fma_f64 v[62:63], v[156:157], s[44:45], v[158:159]
	v_mul_f64 v[138:139], v[88:89], s[4:5]
	v_mul_f64 v[140:141], v[52:53], s[6:7]
	v_add_f64 v[122:123], v[142:143], v[122:123]
	v_add_f64 v[94:95], v[66:67], v[94:95]
	;; [unrolled: 1-line block ×3, first 2 shown]
	v_fma_f64 v[66:67], v[152:153], s[42:43], v[154:155]
	v_fma_f64 v[136:137], v[152:153], s[30:31], v[154:155]
	v_add_f64 v[142:143], v[54:55], v[80:81]
	v_mul_f64 v[80:81], v[52:53], s[34:35]
	v_add_f64 v[144:145], v[56:57], v[82:83]
	v_mul_f64 v[56:57], v[88:89], s[18:19]
	v_add_f64 v[116:117], v[126:127], v[116:117]
	v_fma_f64 v[126:127], v[58:59], s[20:21], v[160:161]
	v_mul_f64 v[82:83], v[88:89], s[14:15]
	v_add_f64 v[102:103], v[118:119], v[102:103]
	v_mul_f64 v[118:119], v[52:53], s[40:41]
	v_add_f64 v[128:129], v[146:147], v[128:129]
	v_add_f64 v[98:99], v[98:99], v[124:125]
	v_mul_f64 v[124:125], v[88:89], s[16:17]
	v_mul_f64 v[146:147], v[52:53], s[30:31]
	v_add_f64 v[112:113], v[132:133], v[112:113]
	v_mul_f64 v[88:89], v[88:89], s[8:9]
	v_mul_f64 v[132:133], v[52:53], s[22:23]
	v_add_f64 v[152:153], v[60:61], v[78:79]
	v_add_f64 v[52:53], v[62:63], v[64:65]
	v_fma_f64 v[60:61], v[156:157], s[36:37], v[158:159]
	v_fma_f64 v[62:63], v[156:157], s[24:25], v[138:139]
	;; [unrolled: 1-line block ×3, first 2 shown]
	v_add_f64 v[130:131], v[148:149], v[130:131]
	v_add_f64 v[148:149], v[66:67], v[72:73]
	;; [unrolled: 1-line block ×4, first 2 shown]
	v_fma_f64 v[66:67], v[156:157], s[6:7], v[138:139]
	v_fma_f64 v[72:73], v[58:59], s[4:5], -v[140:141]
	v_fma_f64 v[74:75], v[156:157], s[38:39], v[56:57]
	v_fma_f64 v[76:77], v[58:59], s[18:19], v[80:81]
	v_add_f64 v[54:55], v[126:127], v[96:97]
	v_fma_f64 v[78:79], v[156:157], s[34:35], v[56:57]
	v_fma_f64 v[80:81], v[58:59], s[18:19], -v[80:81]
	v_fma_f64 v[96:97], v[156:157], s[26:27], v[82:83]
	v_fma_f64 v[126:127], v[58:59], s[14:15], v[118:119]
	v_fma_f64 v[138:139], v[156:157], s[42:43], v[124:125]
	v_fma_f64 v[140:141], v[58:59], s[16:17], v[146:147]
	v_fma_f64 v[154:155], v[156:157], s[28:29], v[88:89]
	v_fma_f64 v[158:159], v[58:59], s[8:9], v[132:133]
	v_fma_f64 v[124:125], v[156:157], s[30:31], v[124:125]
	v_fma_f64 v[162:163], v[156:157], s[22:23], v[88:89]
	v_fma_f64 v[132:133], v[58:59], s[8:9], -v[132:133]
	v_fma_f64 v[146:147], v[58:59], s[16:17], -v[146:147]
	v_fma_f64 v[156:157], v[156:157], s[40:41], v[82:83]
	v_fma_f64 v[118:119], v[58:59], s[14:15], -v[118:119]
	v_fma_f64 v[58:59], v[58:59], s[20:21], -v[160:161]
	v_and_b32_e32 v100, 3, v107
	v_add_f64 v[56:57], v[60:61], v[90:91]
	v_add_f64 v[60:61], v[62:63], v[114:115]
	;; [unrolled: 1-line block ×15, first 2 shown]
	v_mul_u32_u24_e32 v101, 0xb6, v100
	v_add_f64 v[88:89], v[124:125], v[98:99]
	v_add_f64 v[96:97], v[162:163], v[136:137]
	;; [unrolled: 1-line block ×6, first 2 shown]
	v_mul_u32_u24_e32 v102, 0xd0, v106
	v_lshlrev_b32_e32 v100, 4, v101
	v_add_f64 v[58:59], v[58:59], v[150:151]
	s_mov_b32 s1, exec_lo
	v_add3_u32 v102, 0, v102, v100
	ds_write_b128 v102, v[68:71]
	ds_write_b128 v102, v[52:55] offset:16
	ds_write_b128 v102, v[60:63] offset:32
	;; [unrolled: 1-line block ×12, first 2 shown]
	v_cmpx_eq_u32_e32 0, v106
	s_cbranch_execz .LBB0_17
; %bb.16:
	v_add_f64 v[86:87], v[48:49], -v[4:5]
	v_add_f64 v[98:99], v[50:51], -v[6:7]
	;; [unrolled: 1-line block ×4, first 2 shown]
	v_add_f64 v[92:93], v[6:7], v[50:51]
	v_add_f64 v[90:91], v[4:5], v[48:49]
	v_add_f64 v[84:85], v[28:29], -v[12:13]
	v_add_f64 v[88:89], v[30:31], -v[14:15]
	v_add_f64 v[80:81], v[10:11], v[46:47]
	v_add_f64 v[82:83], v[8:9], v[44:45]
	v_add_f64 v[74:75], v[40:41], -v[16:17]
	v_add_f64 v[72:73], v[14:15], v[30:31]
	v_add_f64 v[78:79], v[42:43], -v[18:19]
	v_add_f64 v[76:77], v[12:13], v[28:29]
	v_add_f64 v[50:51], v[50:51], v[2:3]
	v_add_f64 v[66:67], v[36:37], -v[20:21]
	v_add_f64 v[64:65], v[18:19], v[42:43]
	;; [unrolled: 5-line block ×3, first 2 shown]
	v_mul_f64 v[102:103], v[86:87], s[36:37]
	v_mul_f64 v[110:111], v[98:99], s[36:37]
	v_mul_f64 v[120:121], v[94:95], s[6:7]
	v_mul_f64 v[128:129], v[96:97], s[6:7]
	v_mul_f64 v[134:135], v[86:87], s[34:35]
	v_mul_f64 v[136:137], v[98:99], s[34:35]
	v_mul_f64 v[118:119], v[84:85], s[34:35]
	v_mul_f64 v[130:131], v[88:89], s[34:35]
	v_mul_f64 v[148:149], v[94:95], s[22:23]
	v_mul_f64 v[176:177], v[86:87], s[30:31]
	v_mul_f64 v[116:117], v[74:75], s[40:41]
	v_mul_f64 v[146:147], v[84:85], s[26:27]
	v_mul_f64 v[126:127], v[78:79], s[40:41]
	v_mul_f64 v[158:159], v[96:97], s[22:23]
	v_add_f64 v[62:63], v[34:35], -v[26:27]
	v_add_f64 v[60:61], v[20:21], v[36:37]
	v_mul_f64 v[114:115], v[66:67], s[30:31]
	v_mul_f64 v[124:125], v[70:71], s[30:31]
	;; [unrolled: 1-line block ×6, first 2 shown]
	v_fma_f64 v[138:139], v[92:93], s[20:21], -v[102:103]
	v_fma_f64 v[140:141], v[90:91], s[20:21], v[110:111]
	v_fma_f64 v[110:111], v[90:91], s[20:21], -v[110:111]
	v_fma_f64 v[102:103], v[92:93], s[20:21], v[102:103]
	;; [unrolled: 2-line block ×7, first 2 shown]
	v_fma_f64 v[118:119], v[72:73], s[18:19], v[118:119]
	v_fma_f64 v[194:195], v[80:81], s[8:9], -v[148:149]
	v_fma_f64 v[148:149], v[80:81], s[8:9], v[148:149]
	v_fma_f64 v[202:203], v[92:93], s[16:17], -v[176:177]
	;; [unrolled: 2-line block ×4, first 2 shown]
	v_add_f64 v[138:139], v[2:3], v[138:139]
	v_add_f64 v[140:141], v[0:1], v[140:141]
	;; [unrolled: 1-line block ×6, first 2 shown]
	v_mul_f64 v[112:113], v[58:59], s[22:23]
	v_mul_f64 v[122:123], v[62:63], s[22:23]
	v_add_f64 v[170:171], v[2:3], v[170:171]
	v_mul_f64 v[164:165], v[84:85], s[6:7]
	v_mul_f64 v[142:143], v[66:67], s[6:7]
	;; [unrolled: 1-line block ×4, first 2 shown]
	v_add_f64 v[172:173], v[0:1], v[172:173]
	v_mul_f64 v[188:189], v[94:95], s[36:37]
	v_fma_f64 v[200:201], v[76:77], s[14:15], v[156:157]
	v_fma_f64 v[176:177], v[92:93], s[16:17], v[176:177]
	v_add_f64 v[202:203], v[2:3], v[202:203]
	v_mul_f64 v[162:163], v[74:75], s[28:29]
	v_mul_f64 v[180:181], v[88:89], s[6:7]
	;; [unrolled: 1-line block ×4, first 2 shown]
	v_add_f64 v[138:139], v[166:167], v[138:139]
	v_add_f64 v[140:141], v[168:169], v[140:141]
	;; [unrolled: 1-line block ×6, first 2 shown]
	v_fma_f64 v[46:47], v[90:91], s[18:19], -v[136:137]
	v_add_f64 v[136:137], v[44:45], v[48:49]
	v_fma_f64 v[48:49], v[64:65], s[14:15], -v[116:117]
	v_fma_f64 v[50:51], v[68:69], s[14:15], v[126:127]
	v_fma_f64 v[126:127], v[68:69], s[14:15], -v[126:127]
	v_mul_f64 v[128:129], v[86:87], s[28:29]
	v_fma_f64 v[116:117], v[64:65], s[14:15], v[116:117]
	v_add_f64 v[170:171], v[194:195], v[170:171]
	v_fma_f64 v[194:195], v[80:81], s[18:19], -v[174:175]
	v_add_f64 v[172:173], v[196:197], v[172:173]
	v_fma_f64 v[196:197], v[90:91], s[16:17], v[184:185]
	v_fma_f64 v[44:45], v[52:53], s[8:9], -v[112:113]
	v_fma_f64 v[112:113], v[52:53], s[8:9], v[112:113]
	v_fma_f64 v[174:175], v[80:81], s[18:19], v[174:175]
	v_add_f64 v[176:177], v[2:3], v[176:177]
	v_mul_f64 v[166:167], v[98:99], s[28:29]
	v_add_f64 v[138:139], v[190:191], v[138:139]
	v_add_f64 v[140:141], v[192:193], v[140:141]
	;; [unrolled: 1-line block ×5, first 2 shown]
	v_fma_f64 v[120:121], v[56:57], s[16:17], -v[114:115]
	v_add_f64 v[46:47], v[0:1], v[46:47]
	v_fma_f64 v[148:149], v[60:61], s[16:17], v[124:125]
	v_fma_f64 v[124:125], v[60:61], s[16:17], -v[124:125]
	v_fma_f64 v[114:115], v[56:57], s[16:17], v[114:115]
	v_fma_f64 v[190:191], v[64:65], s[20:21], -v[144:145]
	v_fma_f64 v[144:145], v[64:65], s[20:21], v[144:145]
	v_fma_f64 v[130:131], v[54:55], s[8:9], v[122:123]
	;; [unrolled: 1-line block ×3, first 2 shown]
	v_add_f64 v[194:195], v[194:195], v[202:203]
	v_mul_f64 v[152:153], v[70:71], s[6:7]
	v_add_f64 v[196:197], v[0:1], v[196:197]
	v_mul_f64 v[178:179], v[78:79], s[28:29]
	v_add_f64 v[30:31], v[30:31], v[168:169]
	v_add_f64 v[28:29], v[28:29], v[136:137]
	;; [unrolled: 1-line block ×3, first 2 shown]
	v_mul_f64 v[134:135], v[96:97], s[36:37]
	v_add_f64 v[48:49], v[48:49], v[138:139]
	v_add_f64 v[50:51], v[50:51], v[140:141]
	;; [unrolled: 1-line block ×5, first 2 shown]
	v_fma_f64 v[126:127], v[90:91], s[16:17], -v[184:185]
	v_fma_f64 v[138:139], v[76:77], s[14:15], -v[156:157]
	v_add_f64 v[46:47], v[158:159], v[46:47]
	v_fma_f64 v[156:157], v[92:93], s[8:9], -v[128:129]
	v_fma_f64 v[118:119], v[54:55], s[8:9], -v[122:123]
	v_fma_f64 v[158:159], v[72:73], s[4:5], -v[164:165]
	v_fma_f64 v[140:141], v[56:57], s[4:5], -v[142:143]
	v_fma_f64 v[142:143], v[56:57], s[4:5], v[142:143]
	v_fma_f64 v[184:185], v[82:83], s[18:19], v[182:183]
	v_fma_f64 v[164:165], v[72:73], s[4:5], v[164:165]
	v_add_f64 v[170:171], v[198:199], v[170:171]
	v_add_f64 v[172:173], v[200:201], v[172:173]
	v_mul_f64 v[160:161], v[66:67], s[44:45]
	v_add_f64 v[30:31], v[42:43], v[30:31]
	v_add_f64 v[28:29], v[40:41], v[28:29]
	v_fma_f64 v[146:147], v[60:61], s[4:5], v[152:153]
	v_fma_f64 v[42:43], v[72:73], s[16:17], v[186:187]
	v_add_f64 v[48:49], v[120:121], v[48:49]
	v_add_f64 v[50:51], v[148:149], v[50:51]
	v_add_f64 v[110:111], v[124:125], v[110:111]
	v_add_f64 v[102:103], v[114:115], v[102:103]
	v_add_f64 v[114:115], v[144:145], v[116:117]
	v_fma_f64 v[120:121], v[82:83], s[18:19], -v[182:183]
	v_add_f64 v[124:125], v[0:1], v[126:127]
	v_fma_f64 v[126:127], v[68:69], s[20:21], -v[154:155]
	v_add_f64 v[138:139], v[138:139], v[46:47]
	;; [unrolled: 2-line block ×4, first 2 shown]
	v_fma_f64 v[156:157], v[76:77], s[4:5], v[180:181]
	v_add_f64 v[184:185], v[184:185], v[196:197]
	v_fma_f64 v[182:183], v[90:91], s[8:9], v[166:167]
	v_fma_f64 v[116:117], v[54:55], s[16:17], v[150:151]
	v_add_f64 v[136:137], v[164:165], v[174:175]
	v_add_f64 v[170:171], v[190:191], v[170:171]
	;; [unrolled: 1-line block ×3, first 2 shown]
	v_fma_f64 v[164:165], v[68:69], s[8:9], -v[178:179]
	v_add_f64 v[30:31], v[38:39], v[30:31]
	v_add_f64 v[46:47], v[44:45], v[48:49]
	;; [unrolled: 1-line block ×4, first 2 shown]
	v_fma_f64 v[110:111], v[92:93], s[8:9], v[128:129]
	v_add_f64 v[50:51], v[112:113], v[102:103]
	v_add_f64 v[102:103], v[142:143], v[114:115]
	v_fma_f64 v[112:113], v[76:77], s[4:5], -v[180:181]
	v_add_f64 v[114:115], v[120:121], v[124:125]
	v_add_f64 v[120:121], v[126:127], v[138:139]
	v_mul_f64 v[124:125], v[74:75], s[6:7]
	v_fma_f64 v[126:127], v[72:73], s[16:17], -v[186:187]
	v_add_f64 v[128:129], v[144:145], v[148:149]
	v_add_f64 v[154:155], v[154:155], v[158:159]
	v_fma_f64 v[158:159], v[64:65], s[8:9], v[162:163]
	v_fma_f64 v[162:163], v[80:81], s[20:21], v[188:189]
	v_fma_f64 v[118:119], v[60:61], s[4:5], -v[152:153]
	v_mul_f64 v[138:139], v[70:71], s[44:45]
	v_fma_f64 v[142:143], v[68:69], s[8:9], v[178:179]
	v_add_f64 v[156:157], v[156:157], v[184:185]
	v_mul_f64 v[144:145], v[88:89], s[42:43]
	v_fma_f64 v[148:149], v[82:83], s[20:21], v[134:135]
	v_add_f64 v[152:153], v[0:1], v[182:183]
	v_fma_f64 v[134:135], v[82:83], s[20:21], -v[134:135]
	v_add_f64 v[28:29], v[36:37], v[28:29]
	v_mul_f64 v[36:37], v[98:99], s[24:25]
	v_add_f64 v[110:111], v[2:3], v[110:111]
	v_add_f64 v[140:141], v[140:141], v[170:171]
	;; [unrolled: 1-line block ×3, first 2 shown]
	v_fma_f64 v[170:171], v[56:57], s[20:21], -v[160:161]
	v_add_f64 v[112:113], v[112:113], v[114:115]
	v_fma_f64 v[114:115], v[54:55], s[16:17], -v[150:151]
	v_fma_f64 v[150:151], v[90:91], s[8:9], -v[166:167]
	v_mul_f64 v[166:167], v[66:67], s[26:27]
	v_fma_f64 v[168:169], v[64:65], s[4:5], -v[124:125]
	v_add_f64 v[126:127], v[126:127], v[128:129]
	v_add_f64 v[40:41], v[158:159], v[136:137]
	v_mul_f64 v[172:173], v[78:79], s[6:7]
	v_add_f64 v[118:119], v[118:119], v[120:121]
	v_mul_f64 v[120:121], v[62:63], s[40:41]
	v_fma_f64 v[128:129], v[60:61], s[20:21], v[138:139]
	v_add_f64 v[142:143], v[142:143], v[156:157]
	v_fma_f64 v[136:137], v[60:61], s[20:21], -v[138:139]
	v_fma_f64 v[156:157], v[56:57], s[20:21], v[160:161]
	v_fma_f64 v[174:175], v[76:77], s[16:17], v[144:145]
	v_add_f64 v[148:149], v[148:149], v[152:153]
	v_mul_f64 v[38:39], v[98:99], s[26:27]
	v_fma_f64 v[124:125], v[64:65], s[4:5], v[124:125]
	v_add_f64 v[110:111], v[162:163], v[110:111]
	v_mul_f64 v[162:163], v[70:71], s[26:27]
	v_add_f64 v[30:31], v[34:35], v[30:31]
	v_add_f64 v[28:29], v[32:33], v[28:29]
	;; [unrolled: 1-line block ×3, first 2 shown]
	v_fma_f64 v[32:33], v[90:91], s[4:5], -v[36:37]
	v_add_f64 v[138:139], v[0:1], v[150:151]
	v_fma_f64 v[158:159], v[56:57], s[14:15], -v[166:167]
	v_add_f64 v[154:155], v[170:171], v[154:155]
	v_add_f64 v[126:127], v[168:169], v[126:127]
	v_mul_f64 v[168:169], v[86:87], s[26:27]
	v_mul_f64 v[86:87], v[86:87], s[24:25]
	v_fma_f64 v[170:171], v[68:69], s[4:5], v[172:173]
	v_fma_f64 v[164:165], v[54:55], s[14:15], v[120:121]
	v_fma_f64 v[98:99], v[54:55], s[14:15], -v[120:121]
	v_add_f64 v[128:129], v[128:129], v[142:143]
	v_mul_f64 v[142:143], v[94:95], s[30:31]
	v_mul_f64 v[94:95], v[94:95], s[26:27]
	v_add_f64 v[40:41], v[156:157], v[40:41]
	v_mul_f64 v[156:157], v[96:97], s[30:31]
	v_mul_f64 v[96:97], v[96:97], s[26:27]
	v_add_f64 v[148:149], v[174:175], v[148:149]
	v_add_f64 v[42:43], v[42:43], v[110:111]
	v_fma_f64 v[110:111], v[76:77], s[16:17], -v[144:145]
	v_fma_f64 v[34:35], v[90:91], s[14:15], -v[38:39]
	v_fma_f64 v[38:39], v[90:91], s[14:15], v[38:39]
	v_fma_f64 v[36:37], v[90:91], s[4:5], v[36:37]
	v_add_f64 v[26:27], v[26:27], v[30:31]
	v_add_f64 v[120:121], v[134:135], v[138:139]
	v_fma_f64 v[138:139], v[60:61], s[14:15], v[162:163]
	v_add_f64 v[24:25], v[24:25], v[28:29]
	v_add_f64 v[126:127], v[158:159], v[126:127]
	v_fma_f64 v[144:145], v[92:93], s[14:15], v[168:169]
	v_fma_f64 v[158:159], v[56:57], s[14:15], v[166:167]
	;; [unrolled: 1-line block ×3, first 2 shown]
	v_fma_f64 v[86:87], v[92:93], s[4:5], -v[86:87]
	v_add_f64 v[28:29], v[0:1], v[32:33]
	v_mul_f64 v[32:33], v[74:75], s[38:39]
	v_fma_f64 v[90:91], v[80:81], s[16:17], v[142:143]
	v_mul_f64 v[74:75], v[74:75], s[30:31]
	v_mul_f64 v[132:133], v[58:59], s[30:31]
	;; [unrolled: 1-line block ×3, first 2 shown]
	v_fma_f64 v[174:175], v[82:83], s[14:15], -v[96:97]
	v_add_f64 v[148:149], v[170:171], v[148:149]
	v_add_f64 v[42:43], v[124:125], v[42:43]
	v_fma_f64 v[124:125], v[60:61], s[14:15], -v[162:163]
	v_fma_f64 v[162:163], v[92:93], s[14:15], -v[168:169]
	;; [unrolled: 1-line block ×3, first 2 shown]
	v_fma_f64 v[172:173], v[80:81], s[14:15], v[94:95]
	v_mul_f64 v[92:93], v[88:89], s[36:37]
	v_add_f64 v[110:111], v[110:111], v[120:121]
	v_mul_f64 v[120:121], v[84:85], s[36:37]
	v_mul_f64 v[84:85], v[84:85], s[28:29]
	;; [unrolled: 1-line block ×3, first 2 shown]
	v_add_f64 v[144:145], v[2:3], v[144:145]
	v_fma_f64 v[170:171], v[82:83], s[16:17], -v[156:157]
	v_add_f64 v[166:167], v[2:3], v[166:167]
	v_add_f64 v[30:31], v[0:1], v[34:35]
	v_fma_f64 v[34:35], v[80:81], s[16:17], -v[142:143]
	v_fma_f64 v[156:157], v[82:83], s[16:17], v[156:157]
	v_add_f64 v[38:39], v[0:1], v[38:39]
	v_fma_f64 v[80:81], v[80:81], s[14:15], -v[94:95]
	v_fma_f64 v[82:83], v[82:83], s[14:15], v[96:97]
	v_add_f64 v[0:1], v[0:1], v[36:37]
	v_add_f64 v[22:23], v[22:23], v[26:27]
	;; [unrolled: 1-line block ×4, first 2 shown]
	v_mul_f64 v[28:29], v[66:67], s[22:23]
	v_add_f64 v[142:143], v[2:3], v[162:163]
	v_add_f64 v[2:3], v[2:3], v[86:87]
	v_mul_f64 v[162:163], v[78:79], s[38:39]
	v_mul_f64 v[78:79], v[78:79], s[30:31]
	;; [unrolled: 1-line block ×3, first 2 shown]
	v_fma_f64 v[36:37], v[72:73], s[20:21], v[120:121]
	v_fma_f64 v[94:95], v[72:73], s[8:9], v[84:85]
	v_mul_f64 v[150:151], v[58:59], s[34:35]
	v_add_f64 v[86:87], v[90:91], v[144:145]
	v_fma_f64 v[144:145], v[76:77], s[8:9], -v[88:89]
	v_add_f64 v[96:97], v[172:173], v[166:167]
	v_fma_f64 v[90:91], v[76:77], s[20:21], -v[92:93]
	v_add_f64 v[26:27], v[170:171], v[30:31]
	v_fma_f64 v[30:31], v[72:73], s[20:21], -v[120:121]
	v_fma_f64 v[92:93], v[76:77], s[20:21], v[92:93]
	v_add_f64 v[38:39], v[156:157], v[38:39]
	v_fma_f64 v[72:73], v[72:73], s[8:9], -v[84:85]
	v_fma_f64 v[76:77], v[76:77], s[8:9], v[88:89]
	v_add_f64 v[0:1], v[82:83], v[0:1]
	v_fma_f64 v[84:85], v[64:65], s[16:17], v[74:75]
	v_add_f64 v[18:19], v[18:19], v[22:23]
	v_add_f64 v[16:17], v[16:17], v[20:21]
	;; [unrolled: 1-line block ×4, first 2 shown]
	v_mul_f64 v[120:121], v[70:71], s[22:23]
	v_fma_f64 v[80:81], v[64:65], s[18:19], v[32:33]
	v_mul_f64 v[70:71], v[70:71], s[34:35]
	v_fma_f64 v[88:89], v[68:69], s[16:17], -v[78:79]
	v_fma_f64 v[82:83], v[68:69], s[18:19], -v[162:163]
	v_mul_f64 v[160:161], v[62:63], s[34:35]
	v_add_f64 v[36:37], v[36:37], v[86:87]
	v_add_f64 v[20:21], v[144:145], v[24:25]
	;; [unrolled: 1-line block ×3, first 2 shown]
	v_mul_f64 v[24:25], v[58:59], s[6:7]
	v_add_f64 v[22:23], v[90:91], v[26:27]
	v_fma_f64 v[26:27], v[64:65], s[18:19], -v[32:33]
	v_fma_f64 v[64:65], v[64:65], s[16:17], -v[74:75]
	v_add_f64 v[38:39], v[92:93], v[38:39]
	v_mul_f64 v[32:33], v[62:63], s[6:7]
	v_mul_f64 v[58:59], v[58:59], s[36:37]
	v_add_f64 v[0:1], v[76:77], v[0:1]
	v_fma_f64 v[76:77], v[56:57], s[18:19], v[66:67]
	v_add_f64 v[14:15], v[14:15], v[18:19]
	v_add_f64 v[12:13], v[12:13], v[16:17]
	;; [unrolled: 1-line block ×3, first 2 shown]
	v_fma_f64 v[34:35], v[68:69], s[18:19], v[162:163]
	v_add_f64 v[2:3], v[72:73], v[2:3]
	v_fma_f64 v[68:69], v[68:69], s[16:17], v[78:79]
	v_fma_f64 v[72:73], v[56:57], s[8:9], v[28:29]
	v_mul_f64 v[62:63], v[62:63], s[36:37]
	v_fma_f64 v[74:75], v[60:61], s[8:9], -v[120:121]
	v_fma_f64 v[28:29], v[56:57], s[8:9], -v[28:29]
	v_add_f64 v[36:37], v[80:81], v[36:37]
	v_fma_f64 v[80:81], v[60:61], s[18:19], -v[70:71]
	v_add_f64 v[78:79], v[84:85], v[86:87]
	v_add_f64 v[16:17], v[88:89], v[20:21]
	;; [unrolled: 1-line block ×4, first 2 shown]
	v_fma_f64 v[22:23], v[52:53], s[18:19], v[150:151]
	v_add_f64 v[42:43], v[158:159], v[42:43]
	v_fma_f64 v[152:153], v[52:53], s[14:15], -v[130:131]
	v_fma_f64 v[130:131], v[52:53], s[14:15], v[130:131]
	v_add_f64 v[112:113], v[136:137], v[112:113]
	v_fma_f64 v[122:123], v[52:53], s[16:17], -v[132:133]
	v_fma_f64 v[132:133], v[52:53], s[16:17], v[132:133]
	v_add_f64 v[12:13], v[8:9], v[12:13]
	v_add_f64 v[26:27], v[26:27], v[30:31]
	v_fma_f64 v[30:31], v[60:61], s[8:9], v[120:121]
	v_add_f64 v[34:35], v[34:35], v[38:39]
	v_fma_f64 v[38:39], v[56:57], s[18:19], -v[66:67]
	v_add_f64 v[2:3], v[64:65], v[2:3]
	v_fma_f64 v[56:57], v[60:61], s[18:19], v[70:71]
	v_add_f64 v[0:1], v[68:69], v[0:1]
	v_fma_f64 v[68:69], v[52:53], s[20:21], v[58:59]
	v_add_f64 v[36:37], v[72:73], v[36:37]
	v_fma_f64 v[72:73], v[54:55], s[20:21], -v[62:63]
	v_add_f64 v[70:71], v[76:77], v[78:79]
	v_add_f64 v[76:77], v[10:11], v[14:15]
	v_add_f64 v[16:17], v[80:81], v[16:17]
	v_fma_f64 v[64:65], v[52:53], s[4:5], v[24:25]
	v_fma_f64 v[66:67], v[54:55], s[4:5], -v[32:33]
	v_add_f64 v[74:75], v[74:75], v[18:19]
	v_fma_f64 v[60:61], v[54:55], s[18:19], -v[160:161]
	v_add_f64 v[78:79], v[124:125], v[20:21]
	v_fma_f64 v[134:135], v[52:53], s[18:19], -v[150:151]
	v_fma_f64 v[136:137], v[54:55], s[18:19], v[160:161]
	v_add_f64 v[80:81], v[138:139], v[148:149]
	v_fma_f64 v[82:83], v[52:53], s[4:5], -v[24:25]
	v_add_f64 v[84:85], v[28:29], v[26:27]
	v_fma_f64 v[86:87], v[54:55], s[4:5], v[32:33]
	v_add_f64 v[88:89], v[30:31], v[34:35]
	v_fma_f64 v[52:53], v[52:53], s[20:21], -v[58:59]
	v_add_f64 v[58:59], v[38:39], v[2:3]
	v_fma_f64 v[54:55], v[54:55], s[20:21], v[62:63]
	v_add_f64 v[56:57], v[56:57], v[0:1]
	v_add_f64 v[4:5], v[4:5], v[12:13]
	;; [unrolled: 1-line block ×23, first 2 shown]
	v_lshl_add_u32 v52, v101, 4, 0
	ds_write_b128 v52, v[4:7] offset:2704
	ds_write_b128 v52, v[24:27] offset:2720
	;; [unrolled: 1-line block ×13, first 2 shown]
.LBB0_17:
	s_or_b32 exec_lo, exec_lo, s1
	v_add_nc_u16 v2, v106, 26
	v_add_nc_u16 v3, v106, 39
	;; [unrolled: 1-line block ×5, first 2 shown]
	v_and_b32_e32 v0, 0xff, v2
	v_and_b32_e32 v8, 0xff, v3
	;; [unrolled: 1-line block ×4, first 2 shown]
	v_mov_b32_e32 v107, 0
	v_mul_lo_u16 v7, 0x4f, v0
	v_and_b32_e32 v11, 0xff, v6
	v_mul_lo_u16 v8, 0x4f, v8
	v_mul_lo_u16 v9, 0x4f, v9
	;; [unrolled: 1-line block ×3, first 2 shown]
	v_lshrrev_b16 v7, 10, v7
	v_lshlrev_b64 v[0:1], 4, v[106:107]
	v_mov_b32_e32 v14, 4
	v_lshrrev_b16 v9, 10, v9
	v_lshrrev_b16 v10, 10, v10
	v_mul_lo_u16 v7, v7, 13
	s_waitcnt lgkmcnt(0)
	v_add_co_u32 v0, s0, s12, v0
	v_add_co_ci_u32_e64 v1, s0, s13, v1, s0
	v_sub_nc_u16 v2, v2, v7
	v_lshrrev_b16 v7, 10, v8
	v_mul_lo_u16 v8, 0x4f, v11
	v_mul_lo_u16 v9, v9, 13
	;; [unrolled: 1-line block ×3, first 2 shown]
	s_barrier
	v_mul_lo_u16 v7, v7, 13
	v_lshrrev_b16 v8, 10, v8
	buffer_gl0_inv
	v_lshlrev_b32_sdwa v98, v14, v2 dst_sel:DWORD dst_unused:UNUSED_PAD src0_sel:DWORD src1_sel:BYTE_0
	v_sub_nc_u16 v9, v4, v9
	v_sub_nc_u16 v7, v3, v7
	v_mul_lo_u16 v8, v8, 13
	v_sub_nc_u16 v10, v5, v10
	global_load_dwordx4 v[2:5], v[0:1], off
	v_lshlrev_b32_sdwa v101, v14, v9 dst_sel:DWORD dst_unused:UNUSED_PAD src0_sel:DWORD src1_sel:BYTE_0
	v_lshlrev_b32_sdwa v99, v14, v7 dst_sel:DWORD dst_unused:UNUSED_PAD src0_sel:DWORD src1_sel:BYTE_0
	v_sub_nc_u16 v0, v6, v8
	global_load_dwordx4 v[6:9], v98, s[12:13]
	v_lshlrev_b32_sdwa v102, v14, v10 dst_sel:DWORD dst_unused:UNUSED_PAD src0_sel:DWORD src1_sel:BYTE_0
	v_lshlrev_b32_e32 v1, 4, v106
	global_load_dwordx4 v[10:13], v99, s[12:13]
	v_lshlrev_b32_sdwa v103, v14, v0 dst_sel:DWORD dst_unused:UNUSED_PAD src0_sel:DWORD src1_sel:BYTE_0
	s_clause 0x2
	global_load_dwordx4 v[14:17], v101, s[12:13]
	global_load_dwordx4 v[18:21], v102, s[12:13]
	;; [unrolled: 1-line block ×3, first 2 shown]
	v_add3_u32 v0, 0, v1, v100
	ds_read_b128 v[26:29], v0 offset:1456
	ds_read_b128 v[30:33], v0 offset:1664
	;; [unrolled: 1-line block ×7, first 2 shown]
	v_add_nc_u32_e32 v100, 0, v100
	ds_read_b128 v[54:57], v0 offset:1248
	v_add_nc_u32_e32 v1, v100, v1
	ds_read_b128 v[58:61], v1
	ds_read_b128 v[62:65], v0 offset:208
	ds_read_b128 v[66:69], v0 offset:416
	;; [unrolled: 1-line block ×5, first 2 shown]
	s_waitcnt vmcnt(0) lgkmcnt(0)
	s_barrier
	buffer_gl0_inv
	v_mul_f64 v[82:83], v[28:29], v[4:5]
	v_mul_f64 v[84:85], v[26:27], v[4:5]
	;; [unrolled: 1-line block ×14, first 2 shown]
	v_fma_f64 v[26:27], v[26:27], v[2:3], -v[82:83]
	v_fma_f64 v[28:29], v[28:29], v[2:3], v[84:85]
	v_fma_f64 v[30:31], v[30:31], v[2:3], -v[86:87]
	v_fma_f64 v[32:33], v[32:33], v[2:3], v[4:5]
	;; [unrolled: 2-line block ×7, first 2 shown]
	v_add_f64 v[2:3], v[58:59], -v[26:27]
	v_add_f64 v[4:5], v[60:61], -v[28:29]
	;; [unrolled: 1-line block ×14, first 2 shown]
	v_fma_f64 v[30:31], v[58:59], 2.0, -v[2:3]
	v_fma_f64 v[32:33], v[60:61], 2.0, -v[4:5]
	;; [unrolled: 1-line block ×6, first 2 shown]
	v_add_nc_u32_e32 v58, v100, v98
	v_fma_f64 v[42:43], v[70:71], 2.0, -v[14:15]
	v_fma_f64 v[44:45], v[72:73], 2.0, -v[16:17]
	;; [unrolled: 1-line block ×8, first 2 shown]
	v_add_nc_u32_e32 v59, v100, v99
	v_add_nc_u32_e32 v60, v100, v101
	;; [unrolled: 1-line block ×4, first 2 shown]
	ds_write_b128 v0, v[2:5] offset:208
	ds_write_b128 v0, v[6:9] offset:624
	ds_write_b128 v0, v[30:33]
	ds_write_b128 v0, v[34:37] offset:416
	ds_write_b128 v58, v[10:13] offset:1040
	;; [unrolled: 1-line block ×11, first 2 shown]
	s_waitcnt lgkmcnt(0)
	s_barrier
	buffer_gl0_inv
	s_and_saveexec_b32 s0, vcc_lo
	s_cbranch_execz .LBB0_19
; %bb.18:
	v_mul_u32_u24_e32 v2, 6, v106
	v_add_nc_u32_e32 v3, 13, v106
	v_add_nc_u32_e32 v112, 13, v106
	v_mul_hi_u32 v90, 0x4ec4ec4f, v106
	v_mul_lo_u32 v98, s3, v108
	v_lshlrev_b32_e32 v22, 4, v2
	v_mul_u32_u24_e32 v26, 6, v3
	v_mul_hi_u32 v91, 0x4ec4ec4f, v112
	v_mul_lo_u32 v99, s2, v109
	v_mad_u64_u32 v[102:103], null, s2, v108, 0
	s_clause 0x5
	global_load_dwordx4 v[2:5], v22, s[12:13] offset:256
	global_load_dwordx4 v[6:9], v22, s[12:13] offset:240
	;; [unrolled: 1-line block ×6, first 2 shown]
	v_lshlrev_b32_e32 v46, 4, v26
	v_lshrrev_b32_e32 v100, 3, v90
	s_mov_b32 s18, 0xe976ee23
	s_clause 0x5
	global_load_dwordx4 v[26:29], v46, s[12:13] offset:256
	global_load_dwordx4 v[30:33], v46, s[12:13] offset:240
	;; [unrolled: 1-line block ×6, first 2 shown]
	v_lshrrev_b32_e32 v113, 3, v91
	v_mul_lo_u32 v114, v100, 26
	v_add3_u32 v103, v103, v99, v98
	ds_read_b128 v[50:53], v0 offset:1872
	ds_read_b128 v[54:57], v0 offset:1664
	;; [unrolled: 1-line block ×10, first 2 shown]
	v_mul_lo_u32 v115, v113, 26
	ds_read_b128 v[90:93], v0 offset:2704
	ds_read_b128 v[94:97], v0 offset:2496
	;; [unrolled: 1-line block ×3, first 2 shown]
	ds_read_b128 v[108:111], v1
	v_lshlrev_b64 v[0:1], 4, v[104:105]
	v_sub_nc_u32_e32 v105, v106, v114
	v_lshlrev_b64 v[102:103], 4, v[102:103]
	s_mov_b32 s4, 0x429ad128
	s_mov_b32 s19, 0xbfe11646
	v_sub_nc_u32_e32 v104, v112, v115
	v_lshlrev_b32_e32 v105, 4, v105
	s_mov_b32 s5, 0x3febfeb5
	v_add_co_u32 v106, vcc_lo, s10, v102
	v_add_co_ci_u32_e32 v112, vcc_lo, s11, v103, vcc_lo
	v_mad_u64_u32 v[102:103], null, 0xb6, v113, v[104:105]
	v_add_co_u32 v146, vcc_lo, v106, v0
	v_add_co_ci_u32_e32 v147, vcc_lo, v112, v1, vcc_lo
	v_mov_b32_e32 v103, v107
	v_add_co_u32 v104, vcc_lo, v146, v105
	v_add_nc_u32_e32 v106, 26, v102
	v_add_co_ci_u32_e32 v105, vcc_lo, 0, v147, vcc_lo
	v_lshlrev_b64 v[0:1], 4, v[102:103]
	v_add_co_u32 v112, vcc_lo, 0x800, v104
	v_lshlrev_b64 v[114:115], 4, v[106:107]
	v_add_nc_u32_e32 v106, 52, v102
	v_add_co_ci_u32_e32 v113, vcc_lo, 0, v105, vcc_lo
	v_add_co_u32 v116, vcc_lo, v146, v0
	v_add_co_ci_u32_e32 v117, vcc_lo, v147, v1, vcc_lo
	v_lshlrev_b64 v[0:1], 4, v[106:107]
	v_add_co_u32 v114, vcc_lo, v146, v114
	v_add_co_ci_u32_e32 v115, vcc_lo, v147, v115, vcc_lo
	s_mov_b32 s14, 0x36b3c0b5
	v_add_co_u32 v120, vcc_lo, v146, v0
	v_add_co_ci_u32_e32 v121, vcc_lo, v147, v1, vcc_lo
	s_mov_b32 s20, 0x37e14327
	s_mov_b32 s15, 0x3fac98ee
	;; [unrolled: 1-line block ×15, first 2 shown]
	v_add_nc_u32_e32 v106, 0x4e, v102
	v_lshlrev_b64 v[118:119], 4, v[106:107]
	v_add_nc_u32_e32 v106, 0x68, v102
	v_lshlrev_b64 v[122:123], 4, v[106:107]
	v_add_nc_u32_e32 v106, 0x82, v102
	s_waitcnt vmcnt(11) lgkmcnt(12)
	v_mul_f64 v[0:1], v[4:5], v[56:57]
	s_waitcnt vmcnt(10) lgkmcnt(10)
	v_mul_f64 v[124:125], v[8:9], v[64:65]
	;; [unrolled: 2-line block ×6, first 2 shown]
	v_mul_f64 v[72:73], v[10:11], v[72:73]
	v_mul_f64 v[80:81], v[14:15], v[80:81]
	;; [unrolled: 1-line block ×6, first 2 shown]
	s_waitcnt vmcnt(5)
	v_mul_f64 v[134:135], v[28:29], v[52:53]
	s_waitcnt vmcnt(4)
	v_mul_f64 v[136:137], v[32:33], v[60:61]
	s_waitcnt vmcnt(3)
	v_mul_f64 v[138:139], v[36:37], v[68:69]
	s_waitcnt vmcnt(2)
	v_mul_f64 v[140:141], v[40:41], v[76:77]
	s_waitcnt vmcnt(1)
	v_mul_f64 v[142:143], v[44:45], v[84:85]
	s_waitcnt vmcnt(0)
	v_mul_f64 v[144:145], v[48:49], v[92:93]
	v_mul_f64 v[68:69], v[34:35], v[68:69]
	v_mul_f64 v[76:77], v[38:39], v[76:77]
	;; [unrolled: 1-line block ×6, first 2 shown]
	v_fma_f64 v[0:1], v[2:3], v[54:55], -v[0:1]
	v_fma_f64 v[2:3], v[6:7], v[62:63], -v[124:125]
	;; [unrolled: 1-line block ×6, first 2 shown]
	v_fma_f64 v[12:13], v[70:71], v[12:13], v[72:73]
	v_fma_f64 v[16:17], v[78:79], v[16:17], v[80:81]
	;; [unrolled: 1-line block ×6, first 2 shown]
	v_fma_f64 v[24:25], v[26:27], v[50:51], -v[134:135]
	v_fma_f64 v[26:27], v[30:31], v[58:59], -v[136:137]
	;; [unrolled: 1-line block ×6, first 2 shown]
	v_fma_f64 v[36:37], v[66:67], v[36:37], v[68:69]
	v_fma_f64 v[40:41], v[74:75], v[40:41], v[76:77]
	;; [unrolled: 1-line block ×6, first 2 shown]
	v_add_f64 v[48:49], v[0:1], -v[2:3]
	v_add_f64 v[50:51], v[6:7], -v[10:11]
	v_add_f64 v[0:1], v[0:1], v[2:3]
	v_add_f64 v[2:3], v[6:7], v[10:11]
	;; [unrolled: 1-line block ×4, first 2 shown]
	v_add_f64 v[52:53], v[14:15], -v[18:19]
	v_add_f64 v[62:63], v[20:21], v[22:23]
	v_add_f64 v[10:11], v[20:21], -v[22:23]
	v_add_f64 v[54:55], v[4:5], v[8:9]
	v_add_f64 v[4:5], v[4:5], -v[8:9]
	v_add_f64 v[8:9], v[12:13], -v[16:17]
	v_add_f64 v[12:13], v[24:25], -v[26:27]
	v_add_f64 v[14:15], v[30:31], -v[34:35]
	v_add_f64 v[24:25], v[24:25], v[26:27]
	v_add_f64 v[26:27], v[30:31], v[34:35]
	v_add_f64 v[30:31], v[38:39], v[42:43]
	v_add_f64 v[20:21], v[36:37], v[40:41]
	v_add_f64 v[16:17], v[38:39], -v[42:43]
	v_add_f64 v[22:23], v[44:45], v[46:47]
	v_add_f64 v[34:35], v[44:45], -v[46:47]
	v_add_f64 v[18:19], v[28:29], v[32:33]
	v_add_f64 v[28:29], v[28:29], -v[32:33]
	v_add_f64 v[32:33], v[36:37], -v[40:41]
	v_add_f64 v[36:37], v[48:49], v[50:51]
	v_add_f64 v[38:39], v[48:49], -v[50:51]
	v_add_f64 v[64:65], v[2:3], v[6:7]
	v_add_f64 v[66:67], v[6:7], -v[0:1]
	v_add_f64 v[50:51], v[50:51], -v[52:53]
	v_add_f64 v[46:47], v[60:61], v[62:63]
	v_add_f64 v[40:41], v[52:53], -v[48:49]
	v_add_f64 v[42:43], v[54:55], -v[60:61]
	;; [unrolled: 1-line block ×3, first 2 shown]
	v_add_f64 v[68:69], v[4:5], v[8:9]
	v_add_f64 v[70:71], v[4:5], -v[8:9]
	v_add_f64 v[8:9], v[8:9], -v[10:11]
	;; [unrolled: 1-line block ×4, first 2 shown]
	v_add_f64 v[82:83], v[26:27], v[30:31]
	v_add_f64 v[62:63], v[2:3], -v[6:7]
	v_add_f64 v[2:3], v[12:13], v[14:15]
	v_add_f64 v[72:73], v[20:21], v[22:23]
	v_add_f64 v[4:5], v[10:11], -v[4:5]
	v_add_f64 v[6:7], v[12:13], -v[14:15]
	;; [unrolled: 1-line block ×6, first 2 shown]
	v_add_f64 v[84:85], v[28:29], v[32:33]
	v_add_f64 v[86:87], v[28:29], -v[32:33]
	v_add_f64 v[20:21], v[20:21], -v[22:23]
	v_add_f64 v[46:47], v[54:55], v[46:47]
	v_add_f64 v[54:55], v[0:1], v[64:65]
	v_add_f64 v[22:23], v[26:27], -v[30:31]
	v_add_f64 v[26:27], v[32:33], -v[34:35]
	v_add_f64 v[30:31], v[36:37], v[52:53]
	v_mul_f64 v[32:33], v[38:39], s[18:19]
	v_mul_f64 v[52:53], v[70:71], s[18:19]
	;; [unrolled: 1-line block ×3, first 2 shown]
	v_add_f64 v[10:11], v[68:69], v[10:11]
	v_mul_f64 v[68:69], v[8:9], s[4:5]
	v_add_f64 v[24:25], v[24:25], v[82:83]
	v_add_f64 v[14:15], v[14:15], -v[16:17]
	v_add_f64 v[18:19], v[18:19], v[72:73]
	v_add_f64 v[12:13], v[16:17], -v[12:13]
	v_mul_f64 v[36:37], v[42:43], s[14:15]
	v_mul_f64 v[38:39], v[44:45], s[20:21]
	;; [unrolled: 1-line block ×3, first 2 shown]
	v_add_f64 v[16:17], v[2:3], v[16:17]
	v_mul_f64 v[66:67], v[48:49], s[14:15]
	v_add_f64 v[28:29], v[34:35], -v[28:29]
	v_mul_f64 v[70:71], v[6:7], s[18:19]
	v_mul_f64 v[72:73], v[74:75], s[14:15]
	s_waitcnt lgkmcnt(0)
	v_add_f64 v[2:3], v[110:111], v[46:47]
	v_add_f64 v[0:1], v[108:109], v[54:55]
	v_mul_f64 v[76:77], v[76:77], s[20:21]
	v_mul_f64 v[80:81], v[80:81], s[20:21]
	v_add_f64 v[34:35], v[84:85], v[34:35]
	v_mul_f64 v[84:85], v[86:87], s[18:19]
	v_fma_f64 v[90:91], v[40:41], s[8:9], v[32:33]
	v_fma_f64 v[92:93], v[4:5], s[8:9], v[52:53]
	v_fma_f64 v[40:41], v[40:41], s[12:13], -v[64:65]
	v_fma_f64 v[64:65], v[4:5], s[12:13], -v[68:69]
	v_add_f64 v[4:5], v[98:99], v[24:25]
	v_mul_f64 v[86:87], v[14:15], s[4:5]
	v_add_f64 v[6:7], v[100:101], v[18:19]
	v_mul_f64 v[88:89], v[26:27], s[4:5]
	v_mul_f64 v[82:83], v[78:79], s[14:15]
	v_fma_f64 v[42:43], v[42:43], s[14:15], v[38:39]
	v_fma_f64 v[48:49], v[48:49], s[14:15], v[44:45]
	v_fma_f64 v[36:37], v[60:61], s[6:7], -v[36:37]
	v_fma_f64 v[32:33], v[50:51], s[4:5], -v[32:33]
	v_fma_f64 v[8:9], v[8:9], s[4:5], -v[52:53]
	v_fma_f64 v[38:39], v[60:61], s[16:17], -v[38:39]
	v_fma_f64 v[44:45], v[62:63], s[16:17], -v[44:45]
	v_fma_f64 v[46:47], v[46:47], s[2:3], v[2:3]
	v_fma_f64 v[52:53], v[54:55], s[2:3], v[0:1]
	v_fma_f64 v[50:51], v[62:63], s[6:7], -v[66:67]
	v_fma_f64 v[54:55], v[12:13], s[8:9], v[70:71]
	v_fma_f64 v[60:61], v[74:75], s[14:15], v[76:77]
	;; [unrolled: 1-line block ×4, first 2 shown]
	v_fma_f64 v[68:69], v[20:21], s[16:17], -v[76:77]
	v_fma_f64 v[20:21], v[20:21], s[6:7], -v[72:73]
	;; [unrolled: 1-line block ×3, first 2 shown]
	v_fma_f64 v[24:25], v[24:25], s[2:3], v[4:5]
	v_fma_f64 v[12:13], v[12:13], s[12:13], -v[86:87]
	v_fma_f64 v[18:19], v[18:19], s[2:3], v[6:7]
	v_fma_f64 v[74:75], v[22:23], s[16:17], -v[80:81]
	v_fma_f64 v[28:29], v[28:29], s[12:13], -v[88:89]
	v_fma_f64 v[26:27], v[26:27], s[4:5], -v[84:85]
	v_fma_f64 v[22:23], v[22:23], s[6:7], -v[82:83]
	v_fma_f64 v[70:71], v[30:31], s[0:1], v[90:91]
	v_fma_f64 v[72:73], v[10:11], s[0:1], v[92:93]
	;; [unrolled: 1-line block ×5, first 2 shown]
	v_add_f64 v[42:43], v[42:43], v[46:47]
	v_add_f64 v[48:49], v[48:49], v[52:53]
	;; [unrolled: 1-line block ×5, first 2 shown]
	v_fma_f64 v[32:33], v[10:11], s[0:1], v[8:9]
	v_add_f64 v[46:47], v[50:51], v[52:53]
	v_fma_f64 v[52:53], v[16:17], s[0:1], v[54:55]
	v_fma_f64 v[66:67], v[34:35], s[0:1], v[66:67]
	;; [unrolled: 1-line block ×3, first 2 shown]
	v_add_f64 v[62:63], v[62:63], v[24:25]
	v_fma_f64 v[50:51], v[16:17], s[0:1], v[12:13]
	v_add_f64 v[60:61], v[60:61], v[18:19]
	v_add_f64 v[78:79], v[20:21], v[18:19]
	;; [unrolled: 1-line block ×3, first 2 shown]
	v_fma_f64 v[80:81], v[34:35], s[0:1], v[28:29]
	v_add_f64 v[74:75], v[74:75], v[24:25]
	v_fma_f64 v[82:83], v[34:35], s[0:1], v[26:27]
	v_add_f64 v[84:85], v[22:23], v[24:25]
	v_lshlrev_b64 v[58:59], 4, v[106:107]
	v_add_nc_u32_e32 v106, 0x9c, v102
	v_add_co_u32 v56, vcc_lo, v146, v118
	v_add_f64 v[28:29], v[72:73], v[48:49]
	v_add_f64 v[18:19], v[36:37], -v[30:31]
	v_add_f64 v[22:23], v[30:31], v[36:37]
	v_add_f64 v[30:31], v[42:43], -v[70:71]
	v_add_f64 v[26:27], v[38:39], -v[40:41]
	v_add_f64 v[24:25], v[64:65], v[44:45]
	v_add_f64 v[20:21], v[46:47], -v[32:33]
	v_add_f64 v[16:17], v[32:33], v[46:47]
	v_add_f64 v[14:15], v[40:41], v[38:39]
	v_add_f64 v[12:13], v[44:45], -v[64:65]
	v_add_f64 v[10:11], v[70:71], v[42:43]
	v_add_f64 v[8:9], v[48:49], -v[72:73]
	;; [unrolled: 2-line block ×4, first 2 shown]
	v_add_f64 v[52:53], v[66:67], v[62:63]
	v_add_f64 v[38:39], v[50:51], v[68:69]
	v_add_f64 v[50:51], v[68:69], -v[50:51]
	v_add_f64 v[48:49], v[80:81], v[74:75]
	v_add_f64 v[44:45], v[84:85], -v[82:83]
	;; [unrolled: 2-line block ×3, first 2 shown]
	v_add_co_ci_u32_e32 v57, vcc_lo, v147, v119, vcc_lo
	v_add_f64 v[32:33], v[62:63], -v[66:67]
	v_add_co_u32 v76, vcc_lo, v146, v122
	v_lshlrev_b64 v[86:87], 4, v[106:107]
	v_add_co_ci_u32_e32 v77, vcc_lo, v147, v123, vcc_lo
	v_add_co_u32 v58, vcc_lo, v146, v58
	v_add_co_ci_u32_e32 v59, vcc_lo, v147, v59, vcc_lo
	v_add_co_u32 v60, vcc_lo, v146, v86
	v_add_co_ci_u32_e32 v61, vcc_lo, v147, v87, vcc_lo
	global_store_dwordx4 v[104:105], v[0:3], off
	global_store_dwordx4 v[104:105], v[28:31], off offset:416
	global_store_dwordx4 v[104:105], v[24:27], off offset:832
	;; [unrolled: 1-line block ×6, first 2 shown]
	global_store_dwordx4 v[116:117], v[4:7], off
	global_store_dwordx4 v[114:115], v[52:55], off
	;; [unrolled: 1-line block ×7, first 2 shown]
.LBB0_19:
	s_endpgm
	.section	.rodata,"a",@progbits
	.p2align	6, 0x0
	.amdhsa_kernel fft_rtc_fwd_len182_factors_13_2_7_wgs_52_tpt_13_dp_op_CI_CI_unitstride_sbrr_dirReg
		.amdhsa_group_segment_fixed_size 0
		.amdhsa_private_segment_fixed_size 0
		.amdhsa_kernarg_size 104
		.amdhsa_user_sgpr_count 6
		.amdhsa_user_sgpr_private_segment_buffer 1
		.amdhsa_user_sgpr_dispatch_ptr 0
		.amdhsa_user_sgpr_queue_ptr 0
		.amdhsa_user_sgpr_kernarg_segment_ptr 1
		.amdhsa_user_sgpr_dispatch_id 0
		.amdhsa_user_sgpr_flat_scratch_init 0
		.amdhsa_user_sgpr_private_segment_size 0
		.amdhsa_wavefront_size32 1
		.amdhsa_uses_dynamic_stack 0
		.amdhsa_system_sgpr_private_segment_wavefront_offset 0
		.amdhsa_system_sgpr_workgroup_id_x 1
		.amdhsa_system_sgpr_workgroup_id_y 0
		.amdhsa_system_sgpr_workgroup_id_z 0
		.amdhsa_system_sgpr_workgroup_info 0
		.amdhsa_system_vgpr_workitem_id 0
		.amdhsa_next_free_vgpr 236
		.amdhsa_next_free_sgpr 46
		.amdhsa_reserve_vcc 1
		.amdhsa_reserve_flat_scratch 0
		.amdhsa_float_round_mode_32 0
		.amdhsa_float_round_mode_16_64 0
		.amdhsa_float_denorm_mode_32 3
		.amdhsa_float_denorm_mode_16_64 3
		.amdhsa_dx10_clamp 1
		.amdhsa_ieee_mode 1
		.amdhsa_fp16_overflow 0
		.amdhsa_workgroup_processor_mode 1
		.amdhsa_memory_ordered 1
		.amdhsa_forward_progress 0
		.amdhsa_shared_vgpr_count 0
		.amdhsa_exception_fp_ieee_invalid_op 0
		.amdhsa_exception_fp_denorm_src 0
		.amdhsa_exception_fp_ieee_div_zero 0
		.amdhsa_exception_fp_ieee_overflow 0
		.amdhsa_exception_fp_ieee_underflow 0
		.amdhsa_exception_fp_ieee_inexact 0
		.amdhsa_exception_int_div_zero 0
	.end_amdhsa_kernel
	.text
.Lfunc_end0:
	.size	fft_rtc_fwd_len182_factors_13_2_7_wgs_52_tpt_13_dp_op_CI_CI_unitstride_sbrr_dirReg, .Lfunc_end0-fft_rtc_fwd_len182_factors_13_2_7_wgs_52_tpt_13_dp_op_CI_CI_unitstride_sbrr_dirReg
                                        ; -- End function
	.section	.AMDGPU.csdata,"",@progbits
; Kernel info:
; codeLenInByte = 12412
; NumSgprs: 48
; NumVgprs: 236
; ScratchSize: 0
; MemoryBound: 1
; FloatMode: 240
; IeeeMode: 1
; LDSByteSize: 0 bytes/workgroup (compile time only)
; SGPRBlocks: 5
; VGPRBlocks: 29
; NumSGPRsForWavesPerEU: 48
; NumVGPRsForWavesPerEU: 236
; Occupancy: 4
; WaveLimiterHint : 1
; COMPUTE_PGM_RSRC2:SCRATCH_EN: 0
; COMPUTE_PGM_RSRC2:USER_SGPR: 6
; COMPUTE_PGM_RSRC2:TRAP_HANDLER: 0
; COMPUTE_PGM_RSRC2:TGID_X_EN: 1
; COMPUTE_PGM_RSRC2:TGID_Y_EN: 0
; COMPUTE_PGM_RSRC2:TGID_Z_EN: 0
; COMPUTE_PGM_RSRC2:TIDIG_COMP_CNT: 0
	.text
	.p2alignl 6, 3214868480
	.fill 48, 4, 3214868480
	.type	__hip_cuid_9cca32c36a2e3a4d,@object ; @__hip_cuid_9cca32c36a2e3a4d
	.section	.bss,"aw",@nobits
	.globl	__hip_cuid_9cca32c36a2e3a4d
__hip_cuid_9cca32c36a2e3a4d:
	.byte	0                               ; 0x0
	.size	__hip_cuid_9cca32c36a2e3a4d, 1

	.ident	"AMD clang version 19.0.0git (https://github.com/RadeonOpenCompute/llvm-project roc-6.4.0 25133 c7fe45cf4b819c5991fe208aaa96edf142730f1d)"
	.section	".note.GNU-stack","",@progbits
	.addrsig
	.addrsig_sym __hip_cuid_9cca32c36a2e3a4d
	.amdgpu_metadata
---
amdhsa.kernels:
  - .args:
      - .actual_access:  read_only
        .address_space:  global
        .offset:         0
        .size:           8
        .value_kind:     global_buffer
      - .offset:         8
        .size:           8
        .value_kind:     by_value
      - .actual_access:  read_only
        .address_space:  global
        .offset:         16
        .size:           8
        .value_kind:     global_buffer
      - .actual_access:  read_only
        .address_space:  global
        .offset:         24
        .size:           8
        .value_kind:     global_buffer
      - .actual_access:  read_only
        .address_space:  global
        .offset:         32
        .size:           8
        .value_kind:     global_buffer
      - .offset:         40
        .size:           8
        .value_kind:     by_value
      - .actual_access:  read_only
        .address_space:  global
        .offset:         48
        .size:           8
        .value_kind:     global_buffer
      - .actual_access:  read_only
        .address_space:  global
        .offset:         56
        .size:           8
        .value_kind:     global_buffer
      - .offset:         64
        .size:           4
        .value_kind:     by_value
      - .actual_access:  read_only
        .address_space:  global
        .offset:         72
        .size:           8
        .value_kind:     global_buffer
      - .actual_access:  read_only
        .address_space:  global
        .offset:         80
        .size:           8
        .value_kind:     global_buffer
      - .actual_access:  read_only
        .address_space:  global
        .offset:         88
        .size:           8
        .value_kind:     global_buffer
      - .actual_access:  write_only
        .address_space:  global
        .offset:         96
        .size:           8
        .value_kind:     global_buffer
    .group_segment_fixed_size: 0
    .kernarg_segment_align: 8
    .kernarg_segment_size: 104
    .language:       OpenCL C
    .language_version:
      - 2
      - 0
    .max_flat_workgroup_size: 52
    .name:           fft_rtc_fwd_len182_factors_13_2_7_wgs_52_tpt_13_dp_op_CI_CI_unitstride_sbrr_dirReg
    .private_segment_fixed_size: 0
    .sgpr_count:     48
    .sgpr_spill_count: 0
    .symbol:         fft_rtc_fwd_len182_factors_13_2_7_wgs_52_tpt_13_dp_op_CI_CI_unitstride_sbrr_dirReg.kd
    .uniform_work_group_size: 1
    .uses_dynamic_stack: false
    .vgpr_count:     236
    .vgpr_spill_count: 0
    .wavefront_size: 32
    .workgroup_processor_mode: 1
amdhsa.target:   amdgcn-amd-amdhsa--gfx1030
amdhsa.version:
  - 1
  - 2
...

	.end_amdgpu_metadata
